;; amdgpu-corpus repo=ROCm/bitsandbytes kind=harvested arch=n/a opt=n/a
	.text
	.amdgcn_target "amdgcn-amd-amdhsa--gfx90a"
	.amdhsa_code_object_version 6
	.protected	_Z27kspmm_coo_very_sparse_naiveIaLi16ELi8EEvPiS0_S0_S0_S0_P6__halfPT_S2_Pfiiii ; -- Begin function _Z27kspmm_coo_very_sparse_naiveIaLi16ELi8EEvPiS0_S0_S0_S0_P6__halfPT_S2_Pfiiii
	.globl	_Z27kspmm_coo_very_sparse_naiveIaLi16ELi8EEvPiS0_S0_S0_S0_P6__halfPT_S2_Pfiiii
	.p2align	8
	.type	_Z27kspmm_coo_very_sparse_naiveIaLi16ELi8EEvPiS0_S0_S0_S0_P6__halfPT_S2_Pfiiii,@function
_Z27kspmm_coo_very_sparse_naiveIaLi16ELi8EEvPiS0_S0_S0_S0_P6__halfPT_S2_Pfiiii: ; @_Z27kspmm_coo_very_sparse_naiveIaLi16ELi8EEvPiS0_S0_S0_S0_P6__halfPT_S2_Pfiiii
; %bb.0:
	s_load_dwordx16 s[36:51], s[4:5], 0x0
	s_add_u32 s0, s0, s9
	s_mov_b32 s9, 0
	s_addc_u32 s1, s1, 0
	s_lshl_b64 s[6:7], s[8:9], 2
	s_waitcnt lgkmcnt(0)
	s_add_u32 s12, s36, s6
	s_addc_u32 s13, s37, s7
	s_add_u32 s6, s38, s6
	s_addc_u32 s7, s39, s7
	s_load_dword s10, s[6:7], 0x0
	s_load_dword s67, s[12:13], 0x0
	s_mov_b32 s6, 0
	s_waitcnt lgkmcnt(0)
	s_cmp_eq_u32 s10, 0
	s_cbranch_scc1 .LBB35_2
; %bb.1:
	s_ashr_i32 s11, s10, 31
	s_lshl_b64 s[6:7], s[10:11], 2
	s_add_u32 s6, s40, s6
	s_addc_u32 s7, s41, s7
	s_add_u32 s6, s6, -4
	s_addc_u32 s7, s7, -1
	s_load_dword s6, s[6:7], 0x0
.LBB35_2:
	s_waitcnt lgkmcnt(0)
	s_ashr_i32 s7, s6, 31
	s_lshl_b64 s[10:11], s[6:7], 2
	s_add_u32 s12, s42, s10
	s_addc_u32 s13, s43, s11
	s_cmp_lt_i32 s67, 1
	s_cselect_b64 s[52:53], -1, 0
	s_cmp_gt_i32 s67, 0
	v_mov_b32_e32 v1, 0
	v_mov_b32_e32 v2, 0
	s_cbranch_scc0 .LBB35_4
; %bb.3:
	s_lshl_b64 s[8:9], s[6:7], 1
	s_add_u32 s8, s46, s8
	s_addc_u32 s9, s47, s9
	v_mov_b32_e32 v2, 0
	global_load_ushort v2, v2, s[8:9]
	s_add_u32 s8, s44, s10
	s_addc_u32 s9, s45, s11
	s_load_dword s9, s[8:9], 0x0
.LBB35_4:
	s_nop 0
	s_load_dword s8, s[12:13], 0x0
	s_waitcnt vmcnt(0)
	buffer_store_short v2, off, s[0:3], 0
	s_waitcnt lgkmcnt(0)
	v_mov_b32_e32 v2, s9
	s_mov_b32 s9, 0
	s_cmp_lt_i32 s67, 2
	s_mov_b32 s12, 0
	buffer_store_dword v2, off, s[0:3], 0 offset:64
	s_cbranch_scc1 .LBB35_6
; %bb.5:
	s_lshl_b64 s[12:13], s[6:7], 1
	s_add_u32 s12, s46, s12
	s_addc_u32 s13, s47, s13
	v_mov_b32_e32 v1, 0
	global_load_ushort v1, v1, s[12:13] offset:2
	s_add_u32 s12, s44, s10
	s_addc_u32 s13, s45, s11
	s_load_dword s12, s[12:13], 0x4
.LBB35_6:
	s_waitcnt vmcnt(0)
	buffer_store_short v1, off, s[0:3], 0 offset:2
	s_waitcnt lgkmcnt(0)
	v_mov_b32_e32 v1, s12
	buffer_store_dword v1, off, s[0:3], 0 offset:68
	s_cmp_lt_i32 s67, 3
	v_mov_b32_e32 v1, 0
	v_mov_b32_e32 v2, 0
	s_cbranch_scc1 .LBB35_8
; %bb.7:
	s_lshl_b64 s[12:13], s[6:7], 1
	s_add_u32 s12, s46, s12
	s_addc_u32 s13, s47, s13
	v_mov_b32_e32 v2, 0
	global_load_ushort v2, v2, s[12:13] offset:4
	s_add_u32 s12, s44, s10
	s_addc_u32 s13, s45, s11
	s_load_dword s9, s[12:13], 0x8
.LBB35_8:
	s_waitcnt vmcnt(0)
	buffer_store_short v2, off, s[0:3], 0 offset:4
	s_waitcnt lgkmcnt(0)
	v_mov_b32_e32 v2, s9
	s_mov_b32 s9, 0
	s_cmp_lt_i32 s67, 4
	s_mov_b32 s12, 0
	buffer_store_dword v2, off, s[0:3], 0 offset:72
	s_cbranch_scc1 .LBB35_10
; %bb.9:
	s_lshl_b64 s[12:13], s[6:7], 1
	s_add_u32 s12, s46, s12
	s_addc_u32 s13, s47, s13
	v_mov_b32_e32 v1, 0
	global_load_ushort v1, v1, s[12:13] offset:6
	s_add_u32 s12, s44, s10
	s_addc_u32 s13, s45, s11
	s_load_dword s12, s[12:13], 0xc
.LBB35_10:
	s_waitcnt vmcnt(0)
	buffer_store_short v1, off, s[0:3], 0 offset:6
	s_waitcnt lgkmcnt(0)
	v_mov_b32_e32 v1, s12
	buffer_store_dword v1, off, s[0:3], 0 offset:76
	s_cmp_lt_i32 s67, 5
	v_mov_b32_e32 v1, 0
	v_mov_b32_e32 v2, 0
	s_cbranch_scc1 .LBB35_12
; %bb.11:
	s_lshl_b64 s[12:13], s[6:7], 1
	s_add_u32 s12, s46, s12
	s_addc_u32 s13, s47, s13
	v_mov_b32_e32 v2, 0
	global_load_ushort v2, v2, s[12:13] offset:8
	s_add_u32 s12, s44, s10
	s_addc_u32 s13, s45, s11
	s_load_dword s9, s[12:13], 0x10
.LBB35_12:
	s_waitcnt vmcnt(0)
	buffer_store_short v2, off, s[0:3], 0 offset:8
	;; [unrolled: 38-line block ×15, first 2 shown]
	s_waitcnt lgkmcnt(0)
	v_mov_b32_e32 v2, s9
	s_cmp_lt_i32 s67, 32
	s_mov_b32 s9, 0
	buffer_store_dword v2, off, s[0:3], 0 offset:184
	s_cbranch_scc1 .LBB35_66
; %bb.65:
	s_lshl_b64 s[6:7], s[6:7], 1
	s_add_u32 s6, s46, s6
	s_addc_u32 s7, s47, s7
	v_mov_b32_e32 v1, 0
	global_load_ushort v1, v1, s[6:7] offset:62
	s_add_u32 s6, s44, s10
	s_addc_u32 s7, s45, s11
	s_load_dword s9, s[6:7], 0x7c
.LBB35_66:
	s_load_dword s62, s[4:5], 0x54
	v_lshlrev_b32_e32 v2, 4, v0
	v_and_b32_e32 v10, 0x3c00, v2
	s_waitcnt vmcnt(0)
	buffer_store_short v1, off, s[0:3], 0 offset:62
	s_waitcnt lgkmcnt(0)
	v_mov_b32_e32 v1, s9
	v_cmp_gt_i32_e32 vcc, s62, v10
	buffer_store_dword v1, off, s[0:3], 0 offset:188
	s_and_saveexec_b64 s[6:7], vcc
	s_cbranch_execz .LBB35_257
; %bb.67:
	s_load_dwordx2 s[6:7], s[4:5], 0x40
                                        ; implicit-def: $vgpr44 : SGPR spill to VGPR lane
	s_mul_i32 s63, s8, s62
	s_load_dword s4, s[4:5], 0x64
	v_and_b32_e32 v11, 0x3f0, v2
	v_or_b32_e32 v1, v10, v11
	s_waitcnt lgkmcnt(0)
	s_cmp_lg_u64 s[6:7], 0
	s_cselect_b64 s[54:55], -1, 0
	s_and_b32 s64, s4, 0xffff
	s_lshl_b32 s65, s64, 4
	s_add_u32 s4, s50, 2
	v_writelane_b32 v44, s4, 0
	s_addc_u32 s4, s51, 0
	v_writelane_b32 v44, s4, 1
	s_add_u32 s4, s50, 4
	v_writelane_b32 v44, s4, 2
	s_addc_u32 s4, s51, 0
	v_writelane_b32 v44, s4, 3
	s_add_u32 s4, s50, 6
	v_writelane_b32 v44, s4, 4
	s_addc_u32 s4, s51, 0
	v_writelane_b32 v44, s4, 5
	s_add_u32 s4, s50, 8
	v_writelane_b32 v44, s4, 6
	s_addc_u32 s4, s51, 0
	v_writelane_b32 v44, s4, 7
	s_add_u32 s4, s50, 10
	v_writelane_b32 v44, s4, 8
	s_addc_u32 s4, s51, 0
	v_writelane_b32 v44, s4, 9
	s_add_u32 s4, s50, 12
	v_writelane_b32 v44, s4, 10
	s_addc_u32 s4, s51, 0
	v_writelane_b32 v44, s4, 11
	s_add_u32 s4, s50, 14
	v_writelane_b32 v44, s4, 12
	s_addc_u32 s4, s51, 0
	s_add_u32 s80, s48, 8
	s_addc_u32 s81, s49, 0
	s_add_u32 s82, s48, 9
	;; [unrolled: 2-line block ×8, first 2 shown]
	s_addc_u32 s95, s49, 0
	s_ashr_i32 s96, s63, 31
	v_writelane_b32 v44, s4, 13
	s_add_u32 s4, s50, 16
	s_addc_u32 s98, s51, 0
	v_writelane_b32 v44, s4, 14
	s_add_u32 s4, s50, 18
	s_addc_u32 s66, s51, 0
	;; [unrolled: 3-line block ×6, first 2 shown]
	s_add_u32 s71, s50, 28
	v_lshlrev_b32_e32 v12, 1, v1
	s_addc_u32 s73, s51, 0
	v_add_lshl_u32 v1, v0, v10, 2
	s_add_u32 s97, s50, 30
	v_mov_b32_e32 v3, s7
	v_add_co_u32_e32 v2, vcc, s6, v1
	s_mov_b64 s[46:47], 0
	s_addc_u32 s75, s51, 0
	v_lshlrev_b32_e32 v13, 1, v0
	s_lshl_b32 s99, s64, 1
	v_addc_co_u32_e32 v3, vcc, 0, v3, vcc
	s_mov_b32 s77, 0
	s_lshl_b32 s68, s64, 2
	v_cndmask_b32_e64 v14, 0, 1, s[54:55]
	s_movk_i32 s79, 0x7ff
	s_mov_b32 s72, 0x42fe0000
	s_mov_b32 s76, 0x5040100
	v_mov_b32_e32 v15, 0
	v_mov_b32_e32 v16, v10
	v_writelane_b32 v44, s4, 19
	s_branch .LBB35_69
.LBB35_68:                              ;   in Loop: Header=BB35_69 Depth=1
	s_or_b64 exec, exec, s[4:5]
	v_add_u32_e32 v16, s65, v16
	v_cmp_le_i32_e32 vcc, s62, v16
	s_or_b64 s[46:47], vcc, s[46:47]
	s_andn2_b64 exec, exec, s[46:47]
	s_cbranch_execz .LBB35_257
.LBB35_69:                              ; =>This Loop Header: Depth=1
                                        ;     Child Loop BB35_72 Depth 2
                                        ;     Child Loop BB35_83 Depth 2
	v_cmp_ne_u32_e64 s[4:5], 1, v14
	s_andn2_b64 vcc, exec, s[54:55]
	s_cbranch_vccnz .LBB35_75
; %bb.70:                               ;   in Loop: Header=BB35_69 Depth=1
	s_mov_b64 s[6:7], 0
	v_pk_mov_b32 v[4:5], v[2:3], v[2:3] op_sel:[0,1]
	v_mov_b32_e32 v1, v13
	v_mov_b32_e32 v6, v0
	s_branch .LBB35_72
.LBB35_71:                              ;   in Loop: Header=BB35_72 Depth=2
	s_or_b64 exec, exec, s[8:9]
	v_add_u32_e32 v6, s64, v6
	v_cmp_lt_u32_e32 vcc, s79, v6
	v_mov_b32_e32 v7, s77
	s_or_b64 s[6:7], vcc, s[6:7]
	v_add_co_u32_e32 v4, vcc, s68, v4
	v_add_u32_e32 v1, s99, v1
	v_addc_co_u32_e32 v5, vcc, v5, v7, vcc
	s_andn2_b64 exec, exec, s[6:7]
	s_cbranch_execz .LBB35_74
.LBB35_72:                              ;   Parent Loop BB35_69 Depth=1
                                        ; =>  This Inner Loop Header: Depth=2
	v_add_u32_e32 v7, v10, v6
	v_cmp_gt_i32_e32 vcc, s62, v7
	s_and_saveexec_b64 s[8:9], vcc
	s_cbranch_execz .LBB35_71
; %bb.73:                               ;   in Loop: Header=BB35_72 Depth=2
	global_load_dword v7, v[4:5], off
	s_waitcnt vmcnt(0)
	v_cvt_f16_f32_e32 v7, v7
	ds_write_b16 v1, v7
	s_branch .LBB35_71
.LBB35_74:                              ;   in Loop: Header=BB35_69 Depth=1
	s_or_b64 exec, exec, s[6:7]
	s_waitcnt lgkmcnt(0)
	s_barrier
.LBB35_75:                              ;   in Loop: Header=BB35_69 Depth=1
	s_andn2_b64 vcc, exec, s[52:53]
	v_add_u32_e32 v4, v16, v11
	s_cbranch_vccnz .LBB35_77
; %bb.76:                               ;   in Loop: Header=BB35_69 Depth=1
	v_or_b32_e32 v17, 8, v4
	s_mov_b64 s[6:7], 0
	s_mov_b32 s8, 0
	s_branch .LBB35_78
.LBB35_77:                              ;   in Loop: Header=BB35_69 Depth=1
	s_mov_b64 s[6:7], -1
                                        ; implicit-def: $sgpr8
                                        ; implicit-def: $vgpr17
.LBB35_78:                              ;   in Loop: Header=BB35_69 Depth=1
	v_add_u32_e32 v19, 16, v4
	s_andn2_b64 vcc, exec, s[6:7]
	v_mov_b32_e32 v43, s8
	v_cmp_le_i32_e64 s[6:7], s62, v19
	v_mov_b32_e32 v9, s8
	v_mov_b32_e32 v8, s8
	;; [unrolled: 1-line block ×15, first 2 shown]
	s_cbranch_vccnz .LBB35_217
; %bb.79:                               ;   in Loop: Header=BB35_69 Depth=1
	v_or_b32_e32 v1, 1, v4
	v_cmp_gt_i32_e64 s[14:15], s62, v1
	v_or_b32_e32 v1, 2, v4
	v_cmp_gt_i32_e64 s[16:17], s62, v1
	v_or_b32_e32 v1, 3, v4
	v_cmp_gt_i32_e64 s[18:19], s62, v1
	v_or_b32_e32 v1, 4, v4
	v_cmp_gt_i32_e64 s[20:21], s62, v1
	v_or_b32_e32 v1, 5, v4
	v_cmp_gt_i32_e64 s[22:23], s62, v1
	v_or_b32_e32 v1, 6, v4
	v_cmp_gt_i32_e64 s[24:25], s62, v1
	v_or_b32_e32 v1, 7, v4
	v_cmp_gt_i32_e64 s[26:27], s62, v1
	v_or_b32_e32 v1, 9, v4
	v_cmp_gt_i32_e64 s[28:29], s62, v1
	v_or_b32_e32 v1, 10, v4
	v_cmp_gt_i32_e64 s[30:31], s62, v1
	v_or_b32_e32 v1, 11, v4
	v_cmp_gt_i32_e64 s[34:35], s62, v1
	v_or_b32_e32 v1, 12, v4
	v_cmp_gt_i32_e64 s[36:37], s62, v1
	v_or_b32_e32 v1, 13, v4
	v_cmp_gt_i32_e64 s[38:39], s62, v1
	v_or_b32_e32 v1, 14, v4
	v_or_b32_e32 v17, 8, v4
	v_cmp_gt_i32_e64 s[40:41], s62, v1
	v_or_b32_e32 v1, 15, v4
	v_cmp_gt_i32_e64 s[8:9], s62, v4
	v_cmp_gt_i32_e64 s[10:11], s62, v17
	v_cmp_le_i32_e64 s[12:13], s62, v17
	v_cmp_gt_i32_e64 s[42:43], s62, v1
	v_ashrrev_i32_e32 v1, 31, v4
	v_mov_b32_e32 v24, 64
	v_mov_b32_e32 v25, 0
	;; [unrolled: 1-line block ×3, first 2 shown]
	s_mov_b32 s33, s67
	v_mov_b32_e32 v18, 0
	v_mov_b32_e32 v20, 0
	;; [unrolled: 1-line block ×15, first 2 shown]
	s_branch .LBB35_83
.LBB35_80:                              ;   in Loop: Header=BB35_83 Depth=2
	v_mov_b32_e32 v27, v34
	v_mov_b32_e32 v26, v36
	;; [unrolled: 1-line block ×8, first 2 shown]
.LBB35_81:                              ;   in Loop: Header=BB35_83 Depth=2
	s_or_b64 exec, exec, s[58:59]
	v_mov_b32_e32 v43, v28
	v_mov_b32_e32 v9, v30
	;; [unrolled: 1-line block ×8, first 2 shown]
.LBB35_82:                              ;   in Loop: Header=BB35_83 Depth=2
	s_or_b64 exec, exec, s[56:57]
	s_add_i32 s33, s33, -1
	v_add_u32_e32 v24, 4, v24
	s_cmp_eq_u32 s33, 0
	v_add_u32_e32 v25, 2, v25
	s_cbranch_scc1 .LBB35_217
.LBB35_83:                              ;   Parent Loop BB35_69 Depth=1
                                        ; =>  This Inner Loop Header: Depth=2
	s_and_saveexec_b64 s[56:57], s[8:9]
	s_cbranch_execz .LBB35_82
; %bb.84:                               ;   in Loop: Header=BB35_83 Depth=2
	buffer_load_dword v6, v24, s[0:3], 0 offen
	s_waitcnt vmcnt(0)
	v_mul_lo_u32 v41, v6, s62
	v_add_u32_e32 v28, v4, v41
                                        ; implicit-def: $vgpr6_vgpr7
	s_and_saveexec_b64 s[44:45], s[12:13]
	s_xor_b64 s[44:45], exec, s[44:45]
	s_cbranch_execnz .LBB35_168
; %bb.85:                               ;   in Loop: Header=BB35_83 Depth=2
	s_andn2_saveexec_b64 s[44:45], s[44:45]
	s_cbranch_execnz .LBB35_181
.LBB35_86:                              ;   in Loop: Header=BB35_83 Depth=2
	s_or_b64 exec, exec, s[44:45]
	s_and_b64 vcc, exec, s[4:5]
	s_cbranch_vccnz .LBB35_182
.LBB35_87:                              ;   in Loop: Header=BB35_83 Depth=2
	buffer_load_ushort v29, v25, s[0:3], 0 offen
	s_waitcnt vmcnt(1)
	v_cmp_ne_u16_sdwa s[44:45], v6, v15 src0_sel:BYTE_0 src1_sel:DWORD
	v_mov_b32_e32 v28, v43
	s_waitcnt vmcnt(0)
	v_cmp_neq_f16_e32 vcc, 0, v29
	s_and_b64 s[58:59], s[44:45], vcc
	s_and_saveexec_b64 s[44:45], s[58:59]
	s_cbranch_execz .LBB35_89
; %bb.88:                               ;   in Loop: Header=BB35_83 Depth=2
	ds_read_u16 v28, v12
	v_bfe_i32 v30, v6, 0, 8
	v_cvt_f32_i32_sdwa v30, sext(v30) dst_sel:DWORD dst_unused:UNUSED_PAD src0_sel:WORD_0
	s_waitcnt lgkmcnt(0)
	v_cvt_f32_f16_e32 v28, v28
	v_div_scale_f32 v31, s[58:59], s72, s72, v28
	v_rcp_f32_e32 v32, v31
	v_div_scale_f32 v33, vcc, v28, s72, v28
	v_fma_f32 v35, -v31, v32, 1.0
	v_fmac_f32_e32 v32, v35, v32
	v_mul_f32_e32 v35, v33, v32
	v_fma_f32 v37, -v31, v35, v33
	v_fmac_f32_e32 v35, v37, v32
	v_fma_f32 v31, -v31, v35, v33
	v_div_fmas_f32 v31, v31, v32, v35
	v_div_fixup_f32 v28, v31, s72, v28
	v_mul_f32_e32 v28, v28, v30
	v_fma_mixlo_f16 v28, v28, v29, v43 op_sel_hi:[0,1,1]
.LBB35_89:                              ;   in Loop: Header=BB35_83 Depth=2
	s_or_b64 exec, exec, s[44:45]
	s_cbranch_execnz .LBB35_91
.LBB35_90:                              ;   in Loop: Header=BB35_83 Depth=2
	buffer_load_ushort v29, v25, s[0:3], 0 offen
	s_waitcnt vmcnt(1)
	v_bfe_i32 v28, v6, 0, 8
	v_cvt_f32_i32_sdwa v28, sext(v28) dst_sel:DWORD dst_unused:UNUSED_PAD src0_sel:WORD_0
	s_waitcnt vmcnt(0)
	v_fma_mixlo_f16 v28, v28, v29, v43 op_sel_hi:[0,1,1]
.LBB35_91:                              ;   in Loop: Header=BB35_83 Depth=2
	s_and_b64 vcc, exec, s[4:5]
	v_cmp_neq_f16_e64 s[44:45], 0, v29
	s_waitcnt vmcnt(0)
	v_lshrrev_b32_e32 v31, 8, v6
	s_cbranch_vccnz .LBB35_183
; %bb.92:                               ;   in Loop: Header=BB35_83 Depth=2
	v_cmp_ne_u16_sdwa s[58:59], v31, v15 src0_sel:BYTE_0 src1_sel:DWORD
	s_and_b64 s[58:59], s[58:59], s[44:45]
	v_mov_b32_e32 v30, v9
	s_and_saveexec_b64 s[44:45], s[58:59]
	s_cbranch_execz .LBB35_94
; %bb.93:                               ;   in Loop: Header=BB35_83 Depth=2
	ds_read_u16 v30, v12 offset:2
	v_bfe_i32 v32, v31, 0, 8
	v_cvt_f32_i32_sdwa v32, sext(v32) dst_sel:DWORD dst_unused:UNUSED_PAD src0_sel:WORD_0
	s_waitcnt lgkmcnt(0)
	v_cvt_f32_f16_e32 v30, v30
	v_div_scale_f32 v33, s[58:59], s72, s72, v30
	v_rcp_f32_e32 v35, v33
	v_div_scale_f32 v37, vcc, v30, s72, v30
	v_fma_f32 v39, -v33, v35, 1.0
	v_fmac_f32_e32 v35, v39, v35
	v_mul_f32_e32 v39, v37, v35
	v_fma_f32 v43, -v33, v39, v37
	v_fmac_f32_e32 v39, v43, v35
	v_fma_f32 v33, -v33, v39, v37
	v_div_fmas_f32 v33, v33, v35, v39
	v_div_fixup_f32 v30, v33, s72, v30
	v_mul_f32_e32 v30, v30, v32
	v_fma_mixlo_f16 v30, v30, v29, v9 op_sel_hi:[0,1,1]
.LBB35_94:                              ;   in Loop: Header=BB35_83 Depth=2
	s_or_b64 exec, exec, s[44:45]
	s_cbranch_execnz .LBB35_96
.LBB35_95:                              ;   in Loop: Header=BB35_83 Depth=2
	v_bfe_i32 v30, v31, 0, 8
	v_cvt_f32_i32_sdwa v30, sext(v30) dst_sel:DWORD dst_unused:UNUSED_PAD src0_sel:WORD_0
	v_fma_mixlo_f16 v30, v30, v29, v9 op_sel_hi:[0,1,1]
.LBB35_96:                              ;   in Loop: Header=BB35_83 Depth=2
	s_and_b64 vcc, exec, s[4:5]
	v_lshrrev_b32_e32 v9, 16, v6
	s_cbranch_vccnz .LBB35_184
; %bb.97:                               ;   in Loop: Header=BB35_83 Depth=2
	v_cmp_ne_u16_sdwa s[44:45], v9, v15 src0_sel:BYTE_0 src1_sel:DWORD
	v_cmp_neq_f16_e32 vcc, 0, v29
	s_and_b64 s[58:59], s[44:45], vcc
	v_mov_b32_e32 v31, v8
	s_and_saveexec_b64 s[44:45], s[58:59]
	s_cbranch_execz .LBB35_99
; %bb.98:                               ;   in Loop: Header=BB35_83 Depth=2
	ds_read_u16 v31, v12 offset:4
	v_bfe_i32 v32, v9, 0, 8
	v_cvt_f32_i32_sdwa v32, sext(v32) dst_sel:DWORD dst_unused:UNUSED_PAD src0_sel:WORD_0
	s_waitcnt lgkmcnt(0)
	v_cvt_f32_f16_e32 v31, v31
	v_div_scale_f32 v33, s[58:59], s72, s72, v31
	v_rcp_f32_e32 v35, v33
	v_div_scale_f32 v37, vcc, v31, s72, v31
	v_fma_f32 v39, -v33, v35, 1.0
	v_fmac_f32_e32 v35, v39, v35
	v_mul_f32_e32 v39, v37, v35
	v_fma_f32 v43, -v33, v39, v37
	v_fmac_f32_e32 v39, v43, v35
	v_fma_f32 v33, -v33, v39, v37
	v_div_fmas_f32 v33, v33, v35, v39
	v_div_fixup_f32 v31, v33, s72, v31
	v_mul_f32_e32 v31, v31, v32
	v_fma_mixlo_f16 v31, v31, v29, v8 op_sel_hi:[0,1,1]
.LBB35_99:                              ;   in Loop: Header=BB35_83 Depth=2
	s_or_b64 exec, exec, s[44:45]
	s_cbranch_execnz .LBB35_101
.LBB35_100:                             ;   in Loop: Header=BB35_83 Depth=2
	v_bfe_i32 v9, v9, 0, 8
	v_cvt_f32_i32_sdwa v9, sext(v9) dst_sel:DWORD dst_unused:UNUSED_PAD src0_sel:WORD_0
	v_fma_mixlo_f16 v31, v9, v29, v8 op_sel_hi:[0,1,1]
.LBB35_101:                             ;   in Loop: Header=BB35_83 Depth=2
	s_and_b64 vcc, exec, s[4:5]
	s_cbranch_vccnz .LBB35_185
; %bb.102:                              ;   in Loop: Header=BB35_83 Depth=2
	v_lshrrev_b64 v[8:9], 24, v[6:7]
	v_cmp_ne_u16_sdwa s[44:45], v8, v15 src0_sel:BYTE_0 src1_sel:DWORD
	v_cmp_neq_f16_e32 vcc, 0, v29
	s_and_b64 s[58:59], s[44:45], vcc
	v_mov_b32_e32 v32, v42
	s_and_saveexec_b64 s[44:45], s[58:59]
	s_cbranch_execz .LBB35_104
; %bb.103:                              ;   in Loop: Header=BB35_83 Depth=2
	ds_read_u16 v9, v12 offset:6
	v_bfe_i32 v8, v8, 0, 8
	v_cvt_f32_i32_sdwa v8, sext(v8) dst_sel:DWORD dst_unused:UNUSED_PAD src0_sel:WORD_0
	s_waitcnt lgkmcnt(0)
	v_cvt_f32_f16_e32 v9, v9
	v_div_scale_f32 v32, s[58:59], s72, s72, v9
	v_rcp_f32_e32 v33, v32
	v_div_scale_f32 v35, vcc, v9, s72, v9
	v_fma_f32 v37, -v32, v33, 1.0
	v_fmac_f32_e32 v33, v37, v33
	v_mul_f32_e32 v37, v35, v33
	v_fma_f32 v39, -v32, v37, v35
	v_fmac_f32_e32 v37, v39, v33
	v_fma_f32 v32, -v32, v37, v35
	v_div_fmas_f32 v32, v32, v33, v37
	v_div_fixup_f32 v9, v32, s72, v9
	v_mul_f32_e32 v8, v9, v8
	v_fma_mixlo_f16 v32, v8, v29, v42 op_sel_hi:[0,1,1]
.LBB35_104:                             ;   in Loop: Header=BB35_83 Depth=2
	s_or_b64 exec, exec, s[44:45]
	s_cbranch_execnz .LBB35_106
.LBB35_105:                             ;   in Loop: Header=BB35_83 Depth=2
	v_lshrrev_b32_e32 v6, 24, v6
	v_bfe_i32 v6, v6, 0, 8
	v_cvt_f32_i32_sdwa v6, sext(v6) dst_sel:DWORD dst_unused:UNUSED_PAD src0_sel:WORD_0
	v_fma_mixlo_f16 v32, v6, v29, v42 op_sel_hi:[0,1,1]
.LBB35_106:                             ;   in Loop: Header=BB35_83 Depth=2
	s_and_b64 vcc, exec, s[4:5]
	s_cbranch_vccnz .LBB35_186
; %bb.107:                              ;   in Loop: Header=BB35_83 Depth=2
	v_cmp_ne_u16_sdwa s[44:45], v7, v15 src0_sel:BYTE_0 src1_sel:DWORD
	v_cmp_neq_f16_e32 vcc, 0, v29
	s_and_b64 s[58:59], s[44:45], vcc
	v_mov_b32_e32 v33, v40
	s_and_saveexec_b64 s[44:45], s[58:59]
	s_cbranch_execz .LBB35_109
; %bb.108:                              ;   in Loop: Header=BB35_83 Depth=2
	ds_read_u16 v6, v12 offset:8
	v_bfe_i32 v8, v7, 0, 8
	v_cvt_f32_i32_sdwa v8, sext(v8) dst_sel:DWORD dst_unused:UNUSED_PAD src0_sel:WORD_0
	s_waitcnt lgkmcnt(0)
	v_cvt_f32_f16_e32 v6, v6
	v_div_scale_f32 v9, s[58:59], s72, s72, v6
	v_rcp_f32_e32 v33, v9
	v_div_scale_f32 v35, vcc, v6, s72, v6
	v_fma_f32 v37, -v9, v33, 1.0
	v_fmac_f32_e32 v33, v37, v33
	v_mul_f32_e32 v37, v35, v33
	v_fma_f32 v39, -v9, v37, v35
	v_fmac_f32_e32 v37, v39, v33
	v_fma_f32 v9, -v9, v37, v35
	v_div_fmas_f32 v9, v9, v33, v37
	v_div_fixup_f32 v6, v9, s72, v6
	v_mul_f32_e32 v6, v6, v8
	v_fma_mixlo_f16 v33, v6, v29, v40 op_sel_hi:[0,1,1]
.LBB35_109:                             ;   in Loop: Header=BB35_83 Depth=2
	s_or_b64 exec, exec, s[44:45]
	s_cbranch_execnz .LBB35_111
.LBB35_110:                             ;   in Loop: Header=BB35_83 Depth=2
	v_bfe_i32 v6, v7, 0, 8
	v_cvt_f32_i32_sdwa v6, sext(v6) dst_sel:DWORD dst_unused:UNUSED_PAD src0_sel:WORD_0
	v_fma_mixlo_f16 v33, v6, v29, v40 op_sel_hi:[0,1,1]
.LBB35_111:                             ;   in Loop: Header=BB35_83 Depth=2
	s_and_b64 vcc, exec, s[4:5]
	v_lshrrev_b32_e32 v6, 8, v7
	s_cbranch_vccnz .LBB35_187
; %bb.112:                              ;   in Loop: Header=BB35_83 Depth=2
	v_cmp_ne_u16_sdwa s[44:45], v6, v15 src0_sel:BYTE_0 src1_sel:DWORD
	v_cmp_neq_f16_e32 vcc, 0, v29
	s_and_b64 s[58:59], s[44:45], vcc
	v_mov_b32_e32 v35, v38
	s_and_saveexec_b64 s[44:45], s[58:59]
	s_cbranch_execz .LBB35_114
; %bb.113:                              ;   in Loop: Header=BB35_83 Depth=2
	ds_read_u16 v8, v12 offset:10
	v_bfe_i32 v9, v6, 0, 8
	v_cvt_f32_i32_sdwa v9, sext(v9) dst_sel:DWORD dst_unused:UNUSED_PAD src0_sel:WORD_0
	s_waitcnt lgkmcnt(0)
	v_cvt_f32_f16_e32 v8, v8
	v_div_scale_f32 v35, s[58:59], s72, s72, v8
	v_rcp_f32_e32 v37, v35
	v_div_scale_f32 v39, vcc, v8, s72, v8
	v_fma_f32 v40, -v35, v37, 1.0
	v_fmac_f32_e32 v37, v40, v37
	v_mul_f32_e32 v40, v39, v37
	v_fma_f32 v42, -v35, v40, v39
	v_fmac_f32_e32 v40, v42, v37
	v_fma_f32 v35, -v35, v40, v39
	v_div_fmas_f32 v35, v35, v37, v40
	v_div_fixup_f32 v8, v35, s72, v8
	v_mul_f32_e32 v8, v8, v9
	v_fma_mixlo_f16 v35, v8, v29, v38 op_sel_hi:[0,1,1]
.LBB35_114:                             ;   in Loop: Header=BB35_83 Depth=2
	s_or_b64 exec, exec, s[44:45]
	s_cbranch_execnz .LBB35_116
.LBB35_115:                             ;   in Loop: Header=BB35_83 Depth=2
	v_bfe_i32 v6, v6, 0, 8
	v_cvt_f32_i32_sdwa v6, sext(v6) dst_sel:DWORD dst_unused:UNUSED_PAD src0_sel:WORD_0
	v_fma_mixlo_f16 v35, v6, v29, v38 op_sel_hi:[0,1,1]
.LBB35_116:                             ;   in Loop: Header=BB35_83 Depth=2
	s_and_b64 vcc, exec, s[4:5]
	v_lshrrev_b32_e32 v6, 16, v7
	s_cbranch_vccnz .LBB35_188
; %bb.117:                              ;   in Loop: Header=BB35_83 Depth=2
	v_cmp_ne_u16_sdwa s[44:45], v6, v15 src0_sel:BYTE_0 src1_sel:DWORD
	v_cmp_neq_f16_e32 vcc, 0, v29
	s_and_b64 s[58:59], s[44:45], vcc
	v_mov_b32_e32 v37, v36
	s_and_saveexec_b64 s[44:45], s[58:59]
	s_cbranch_execz .LBB35_119
; %bb.118:                              ;   in Loop: Header=BB35_83 Depth=2
	ds_read_u16 v8, v12 offset:12
	v_bfe_i32 v9, v6, 0, 8
	v_cvt_f32_i32_sdwa v9, sext(v9) dst_sel:DWORD dst_unused:UNUSED_PAD src0_sel:WORD_0
	s_waitcnt lgkmcnt(0)
	v_cvt_f32_f16_e32 v8, v8
	v_div_scale_f32 v37, s[58:59], s72, s72, v8
	v_rcp_f32_e32 v38, v37
	v_div_scale_f32 v39, vcc, v8, s72, v8
	v_fma_f32 v40, -v37, v38, 1.0
	v_fmac_f32_e32 v38, v40, v38
	v_mul_f32_e32 v40, v39, v38
	v_fma_f32 v42, -v37, v40, v39
	v_fmac_f32_e32 v40, v42, v38
	v_fma_f32 v37, -v37, v40, v39
	v_div_fmas_f32 v37, v37, v38, v40
	v_div_fixup_f32 v8, v37, s72, v8
	v_mul_f32_e32 v8, v8, v9
	v_fma_mixlo_f16 v37, v8, v29, v36 op_sel_hi:[0,1,1]
.LBB35_119:                             ;   in Loop: Header=BB35_83 Depth=2
	s_or_b64 exec, exec, s[44:45]
	s_cbranch_execnz .LBB35_121
.LBB35_120:                             ;   in Loop: Header=BB35_83 Depth=2
	v_bfe_i32 v6, v6, 0, 8
	v_cvt_f32_i32_sdwa v6, sext(v6) dst_sel:DWORD dst_unused:UNUSED_PAD src0_sel:WORD_0
	v_fma_mixlo_f16 v37, v6, v29, v36 op_sel_hi:[0,1,1]
.LBB35_121:                             ;   in Loop: Header=BB35_83 Depth=2
	s_and_b64 vcc, exec, s[4:5]
	v_lshrrev_b32_e32 v6, 24, v7
	s_cbranch_vccnz .LBB35_189
; %bb.122:                              ;   in Loop: Header=BB35_83 Depth=2
	v_cmp_ne_u16_e32 vcc, 0, v6
	v_cmp_neq_f16_e64 s[44:45], 0, v29
	s_and_b64 s[58:59], vcc, s[44:45]
	v_mov_b32_e32 v39, v34
	s_and_saveexec_b64 s[44:45], s[58:59]
	s_cbranch_execz .LBB35_124
; %bb.123:                              ;   in Loop: Header=BB35_83 Depth=2
	ds_read_u16 v7, v12 offset:14
	v_bfe_i32 v8, v6, 0, 8
	v_cvt_f32_i32_sdwa v8, sext(v8) dst_sel:DWORD dst_unused:UNUSED_PAD src0_sel:WORD_0
	s_waitcnt lgkmcnt(0)
	v_cvt_f32_f16_e32 v7, v7
	v_div_scale_f32 v9, s[58:59], s72, s72, v7
	v_rcp_f32_e32 v36, v9
	v_div_scale_f32 v38, vcc, v7, s72, v7
	v_fma_f32 v39, -v9, v36, 1.0
	v_fmac_f32_e32 v36, v39, v36
	v_mul_f32_e32 v39, v38, v36
	v_fma_f32 v40, -v9, v39, v38
	v_fmac_f32_e32 v39, v40, v36
	v_fma_f32 v9, -v9, v39, v38
	v_div_fmas_f32 v9, v9, v36, v39
	v_div_fixup_f32 v7, v9, s72, v7
	v_mul_f32_e32 v7, v7, v8
	v_fma_mixlo_f16 v39, v7, v29, v34 op_sel_hi:[0,1,1]
.LBB35_124:                             ;   in Loop: Header=BB35_83 Depth=2
	s_or_b64 exec, exec, s[44:45]
	s_cbranch_execnz .LBB35_126
.LBB35_125:                             ;   in Loop: Header=BB35_83 Depth=2
	v_bfe_i32 v6, v6, 0, 8
	v_cvt_f32_i32_sdwa v6, sext(v6) dst_sel:DWORD dst_unused:UNUSED_PAD src0_sel:WORD_0
	v_fma_mixlo_f16 v39, v6, v29, v34 op_sel_hi:[0,1,1]
.LBB35_126:                             ;   in Loop: Header=BB35_83 Depth=2
	s_and_saveexec_b64 s[58:59], s[10:11]
	s_cbranch_execz .LBB35_81
; %bb.127:                              ;   in Loop: Header=BB35_83 Depth=2
                                        ; implicit-def: $vgpr6_vgpr7
	s_and_saveexec_b64 s[44:45], s[6:7]
	s_xor_b64 s[44:45], exec, s[44:45]
	s_cbranch_execnz .LBB35_190
; %bb.128:                              ;   in Loop: Header=BB35_83 Depth=2
	s_andn2_saveexec_b64 s[44:45], s[44:45]
	s_cbranch_execnz .LBB35_203
.LBB35_129:                             ;   in Loop: Header=BB35_83 Depth=2
	s_or_b64 exec, exec, s[44:45]
	s_and_b64 vcc, exec, s[4:5]
	s_cbranch_vccnz .LBB35_204
.LBB35_130:                             ;   in Loop: Header=BB35_83 Depth=2
	s_waitcnt vmcnt(0)
	v_cmp_ne_u16_sdwa s[44:45], v6, v15 src0_sel:BYTE_0 src1_sel:DWORD
	v_cmp_neq_f16_e32 vcc, 0, v29
	s_and_b64 s[60:61], s[44:45], vcc
	v_mov_b32_e32 v34, v27
	s_and_saveexec_b64 s[44:45], s[60:61]
	s_cbranch_execz .LBB35_132
; %bb.131:                              ;   in Loop: Header=BB35_83 Depth=2
	ds_read_u16 v8, v12 offset:16
	v_bfe_i32 v9, v6, 0, 8
	v_cvt_f32_i32_sdwa v9, sext(v9) dst_sel:DWORD dst_unused:UNUSED_PAD src0_sel:WORD_0
	s_waitcnt lgkmcnt(0)
	v_cvt_f32_f16_e32 v8, v8
	v_div_scale_f32 v34, s[60:61], s72, s72, v8
	v_rcp_f32_e32 v36, v34
	v_div_scale_f32 v38, vcc, v8, s72, v8
	v_fma_f32 v40, -v34, v36, 1.0
	v_fmac_f32_e32 v36, v40, v36
	v_mul_f32_e32 v40, v38, v36
	v_fma_f32 v41, -v34, v40, v38
	v_fmac_f32_e32 v40, v41, v36
	v_fma_f32 v34, -v34, v40, v38
	v_div_fmas_f32 v34, v34, v36, v40
	v_div_fixup_f32 v8, v34, s72, v8
	v_mul_f32_e32 v8, v8, v9
	v_fma_mixlo_f16 v34, v8, v29, v27 op_sel_hi:[0,1,1]
.LBB35_132:                             ;   in Loop: Header=BB35_83 Depth=2
	s_or_b64 exec, exec, s[44:45]
	s_cbranch_execnz .LBB35_134
.LBB35_133:                             ;   in Loop: Header=BB35_83 Depth=2
	s_waitcnt vmcnt(0)
	v_bfe_i32 v8, v6, 0, 8
	v_cvt_f32_i32_sdwa v8, sext(v8) dst_sel:DWORD dst_unused:UNUSED_PAD src0_sel:WORD_0
	v_fma_mixlo_f16 v34, v8, v29, v27 op_sel_hi:[0,1,1]
.LBB35_134:                             ;   in Loop: Header=BB35_83 Depth=2
	s_and_b64 vcc, exec, s[4:5]
	s_waitcnt vmcnt(0)
	v_lshrrev_b32_e32 v8, 8, v6
	s_cbranch_vccnz .LBB35_207
; %bb.135:                              ;   in Loop: Header=BB35_83 Depth=2
	v_cmp_ne_u16_sdwa s[44:45], v8, v15 src0_sel:BYTE_0 src1_sel:DWORD
	v_cmp_neq_f16_e32 vcc, 0, v29
	s_and_b64 s[60:61], s[44:45], vcc
	v_mov_b32_e32 v36, v26
	s_and_saveexec_b64 s[44:45], s[60:61]
	s_cbranch_execz .LBB35_137
; %bb.136:                              ;   in Loop: Header=BB35_83 Depth=2
	ds_read_u16 v9, v12 offset:18
	v_bfe_i32 v27, v8, 0, 8
	v_cvt_f32_i32_sdwa v27, sext(v27) dst_sel:DWORD dst_unused:UNUSED_PAD src0_sel:WORD_0
	s_waitcnt lgkmcnt(0)
	v_cvt_f32_f16_e32 v9, v9
	v_div_scale_f32 v36, s[60:61], s72, s72, v9
	v_rcp_f32_e32 v38, v36
	v_div_scale_f32 v40, vcc, v9, s72, v9
	v_fma_f32 v41, -v36, v38, 1.0
	v_fmac_f32_e32 v38, v41, v38
	v_mul_f32_e32 v41, v40, v38
	v_fma_f32 v42, -v36, v41, v40
	v_fmac_f32_e32 v41, v42, v38
	v_fma_f32 v36, -v36, v41, v40
	v_div_fmas_f32 v36, v36, v38, v41
	v_div_fixup_f32 v9, v36, s72, v9
	v_mul_f32_e32 v9, v9, v27
	v_fma_mixlo_f16 v36, v9, v29, v26 op_sel_hi:[0,1,1]
.LBB35_137:                             ;   in Loop: Header=BB35_83 Depth=2
	s_or_b64 exec, exec, s[44:45]
	s_cbranch_execnz .LBB35_139
.LBB35_138:                             ;   in Loop: Header=BB35_83 Depth=2
	v_bfe_i32 v8, v8, 0, 8
	v_cvt_f32_i32_sdwa v8, sext(v8) dst_sel:DWORD dst_unused:UNUSED_PAD src0_sel:WORD_0
	v_fma_mixlo_f16 v36, v8, v29, v26 op_sel_hi:[0,1,1]
.LBB35_139:                             ;   in Loop: Header=BB35_83 Depth=2
	s_and_b64 vcc, exec, s[4:5]
	v_lshrrev_b32_e32 v8, 16, v6
	s_cbranch_vccnz .LBB35_208
; %bb.140:                              ;   in Loop: Header=BB35_83 Depth=2
	v_cmp_ne_u16_sdwa s[44:45], v8, v15 src0_sel:BYTE_0 src1_sel:DWORD
	v_cmp_neq_f16_e32 vcc, 0, v29
	s_and_b64 s[60:61], s[44:45], vcc
	v_mov_b32_e32 v38, v23
	s_and_saveexec_b64 s[44:45], s[60:61]
	s_cbranch_execz .LBB35_142
; %bb.141:                              ;   in Loop: Header=BB35_83 Depth=2
	ds_read_u16 v9, v12 offset:20
	v_bfe_i32 v26, v8, 0, 8
	v_cvt_f32_i32_sdwa v26, sext(v26) dst_sel:DWORD dst_unused:UNUSED_PAD src0_sel:WORD_0
	s_waitcnt lgkmcnt(0)
	v_cvt_f32_f16_e32 v9, v9
	v_div_scale_f32 v27, s[60:61], s72, s72, v9
	v_rcp_f32_e32 v38, v27
	v_div_scale_f32 v40, vcc, v9, s72, v9
	v_fma_f32 v41, -v27, v38, 1.0
	v_fmac_f32_e32 v38, v41, v38
	v_mul_f32_e32 v41, v40, v38
	v_fma_f32 v42, -v27, v41, v40
	v_fmac_f32_e32 v41, v42, v38
	v_fma_f32 v27, -v27, v41, v40
	v_div_fmas_f32 v27, v27, v38, v41
	v_div_fixup_f32 v9, v27, s72, v9
	v_mul_f32_e32 v9, v9, v26
	v_fma_mixlo_f16 v38, v9, v29, v23 op_sel_hi:[0,1,1]
.LBB35_142:                             ;   in Loop: Header=BB35_83 Depth=2
	s_or_b64 exec, exec, s[44:45]
	s_cbranch_execnz .LBB35_144
.LBB35_143:                             ;   in Loop: Header=BB35_83 Depth=2
	v_bfe_i32 v8, v8, 0, 8
	v_cvt_f32_i32_sdwa v8, sext(v8) dst_sel:DWORD dst_unused:UNUSED_PAD src0_sel:WORD_0
	v_fma_mixlo_f16 v38, v8, v29, v23 op_sel_hi:[0,1,1]
.LBB35_144:                             ;   in Loop: Header=BB35_83 Depth=2
	s_and_b64 vcc, exec, s[4:5]
	s_cbranch_vccnz .LBB35_209
; %bb.145:                              ;   in Loop: Header=BB35_83 Depth=2
	v_lshrrev_b64 v[8:9], 24, v[6:7]
	v_cmp_ne_u16_sdwa s[44:45], v8, v15 src0_sel:BYTE_0 src1_sel:DWORD
	v_cmp_neq_f16_e32 vcc, 0, v29
	s_and_b64 s[60:61], s[44:45], vcc
	v_mov_b32_e32 v9, v22
	s_and_saveexec_b64 s[44:45], s[60:61]
	s_cbranch_execz .LBB35_147
; %bb.146:                              ;   in Loop: Header=BB35_83 Depth=2
	ds_read_u16 v9, v12 offset:22
	v_bfe_i32 v8, v8, 0, 8
	v_cvt_f32_i32_sdwa v8, sext(v8) dst_sel:DWORD dst_unused:UNUSED_PAD src0_sel:WORD_0
	s_waitcnt lgkmcnt(0)
	v_cvt_f32_f16_e32 v9, v9
	v_div_scale_f32 v23, s[60:61], s72, s72, v9
	v_rcp_f32_e32 v26, v23
	v_div_scale_f32 v27, vcc, v9, s72, v9
	v_fma_f32 v40, -v23, v26, 1.0
	v_fmac_f32_e32 v26, v40, v26
	v_mul_f32_e32 v40, v27, v26
	v_fma_f32 v41, -v23, v40, v27
	v_fmac_f32_e32 v40, v41, v26
	v_fma_f32 v23, -v23, v40, v27
	v_div_fmas_f32 v23, v23, v26, v40
	v_div_fixup_f32 v9, v23, s72, v9
	v_mul_f32_e32 v8, v9, v8
	v_fma_mixlo_f16 v9, v8, v29, v22 op_sel_hi:[0,1,1]
.LBB35_147:                             ;   in Loop: Header=BB35_83 Depth=2
	s_or_b64 exec, exec, s[44:45]
	s_cbranch_execnz .LBB35_149
.LBB35_148:                             ;   in Loop: Header=BB35_83 Depth=2
	v_lshrrev_b32_e32 v6, 24, v6
	v_bfe_i32 v6, v6, 0, 8
	v_cvt_f32_i32_sdwa v6, sext(v6) dst_sel:DWORD dst_unused:UNUSED_PAD src0_sel:WORD_0
	v_fma_mixlo_f16 v9, v6, v29, v22 op_sel_hi:[0,1,1]
.LBB35_149:                             ;   in Loop: Header=BB35_83 Depth=2
	s_and_b64 vcc, exec, s[4:5]
	s_cbranch_vccnz .LBB35_210
; %bb.150:                              ;   in Loop: Header=BB35_83 Depth=2
	v_cmp_ne_u16_sdwa s[44:45], v7, v15 src0_sel:BYTE_0 src1_sel:DWORD
	v_cmp_neq_f16_e32 vcc, 0, v29
	s_and_b64 s[60:61], s[44:45], vcc
	v_mov_b32_e32 v6, v21
	s_and_saveexec_b64 s[44:45], s[60:61]
	s_cbranch_execz .LBB35_152
; %bb.151:                              ;   in Loop: Header=BB35_83 Depth=2
	ds_read_u16 v6, v12 offset:24
	v_bfe_i32 v8, v7, 0, 8
	v_cvt_f32_i32_sdwa v8, sext(v8) dst_sel:DWORD dst_unused:UNUSED_PAD src0_sel:WORD_0
	s_waitcnt lgkmcnt(0)
	v_cvt_f32_f16_e32 v6, v6
	v_div_scale_f32 v22, s[60:61], s72, s72, v6
	v_rcp_f32_e32 v23, v22
	v_div_scale_f32 v26, vcc, v6, s72, v6
	v_fma_f32 v27, -v22, v23, 1.0
	v_fmac_f32_e32 v23, v27, v23
	v_mul_f32_e32 v27, v26, v23
	v_fma_f32 v40, -v22, v27, v26
	v_fmac_f32_e32 v27, v40, v23
	v_fma_f32 v22, -v22, v27, v26
	v_div_fmas_f32 v22, v22, v23, v27
	v_div_fixup_f32 v6, v22, s72, v6
	v_mul_f32_e32 v6, v6, v8
	v_fma_mixlo_f16 v6, v6, v29, v21 op_sel_hi:[0,1,1]
.LBB35_152:                             ;   in Loop: Header=BB35_83 Depth=2
	s_or_b64 exec, exec, s[44:45]
	s_cbranch_execnz .LBB35_154
.LBB35_153:                             ;   in Loop: Header=BB35_83 Depth=2
	v_bfe_i32 v6, v7, 0, 8
	v_cvt_f32_i32_sdwa v6, sext(v6) dst_sel:DWORD dst_unused:UNUSED_PAD src0_sel:WORD_0
	v_fma_mixlo_f16 v6, v6, v29, v21 op_sel_hi:[0,1,1]
.LBB35_154:                             ;   in Loop: Header=BB35_83 Depth=2
	s_and_b64 vcc, exec, s[4:5]
	v_lshrrev_b32_e32 v21, 8, v7
	s_cbranch_vccnz .LBB35_211
; %bb.155:                              ;   in Loop: Header=BB35_83 Depth=2
	v_cmp_ne_u16_sdwa s[44:45], v21, v15 src0_sel:BYTE_0 src1_sel:DWORD
	v_cmp_neq_f16_e32 vcc, 0, v29
	s_and_b64 s[60:61], s[44:45], vcc
	v_mov_b32_e32 v8, v20
	s_and_saveexec_b64 s[44:45], s[60:61]
	s_cbranch_execz .LBB35_157
; %bb.156:                              ;   in Loop: Header=BB35_83 Depth=2
	ds_read_u16 v8, v12 offset:26
	v_bfe_i32 v22, v21, 0, 8
	v_cvt_f32_i32_sdwa v22, sext(v22) dst_sel:DWORD dst_unused:UNUSED_PAD src0_sel:WORD_0
	s_waitcnt lgkmcnt(0)
	v_cvt_f32_f16_e32 v8, v8
	v_div_scale_f32 v23, s[60:61], s72, s72, v8
	v_rcp_f32_e32 v26, v23
	v_div_scale_f32 v27, vcc, v8, s72, v8
	v_fma_f32 v40, -v23, v26, 1.0
	v_fmac_f32_e32 v26, v40, v26
	v_mul_f32_e32 v40, v27, v26
	v_fma_f32 v41, -v23, v40, v27
	v_fmac_f32_e32 v40, v41, v26
	v_fma_f32 v23, -v23, v40, v27
	v_div_fmas_f32 v23, v23, v26, v40
	v_div_fixup_f32 v8, v23, s72, v8
	v_mul_f32_e32 v8, v8, v22
	v_fma_mixlo_f16 v8, v8, v29, v20 op_sel_hi:[0,1,1]
.LBB35_157:                             ;   in Loop: Header=BB35_83 Depth=2
	s_or_b64 exec, exec, s[44:45]
	s_cbranch_execnz .LBB35_159
.LBB35_158:                             ;   in Loop: Header=BB35_83 Depth=2
	v_bfe_i32 v8, v21, 0, 8
	v_cvt_f32_i32_sdwa v8, sext(v8) dst_sel:DWORD dst_unused:UNUSED_PAD src0_sel:WORD_0
	v_fma_mixlo_f16 v8, v8, v29, v20 op_sel_hi:[0,1,1]
.LBB35_159:                             ;   in Loop: Header=BB35_83 Depth=2
	s_and_b64 vcc, exec, s[4:5]
	v_lshrrev_b32_e32 v20, 16, v7
	s_cbranch_vccnz .LBB35_212
; %bb.160:                              ;   in Loop: Header=BB35_83 Depth=2
	v_cmp_ne_u16_sdwa s[44:45], v20, v15 src0_sel:BYTE_0 src1_sel:DWORD
	v_cmp_neq_f16_e32 vcc, 0, v29
	s_and_b64 s[60:61], s[44:45], vcc
	v_mov_b32_e32 v40, v18
	s_and_saveexec_b64 s[44:45], s[60:61]
	s_cbranch_execz .LBB35_162
; %bb.161:                              ;   in Loop: Header=BB35_83 Depth=2
	ds_read_u16 v21, v12 offset:28
	v_bfe_i32 v22, v20, 0, 8
	v_cvt_f32_i32_sdwa v22, sext(v22) dst_sel:DWORD dst_unused:UNUSED_PAD src0_sel:WORD_0
	s_waitcnt lgkmcnt(0)
	v_cvt_f32_f16_e32 v21, v21
	v_div_scale_f32 v23, s[60:61], s72, s72, v21
	v_rcp_f32_e32 v26, v23
	v_div_scale_f32 v27, vcc, v21, s72, v21
	v_fma_f32 v40, -v23, v26, 1.0
	v_fmac_f32_e32 v26, v40, v26
	v_mul_f32_e32 v40, v27, v26
	v_fma_f32 v41, -v23, v40, v27
	v_fmac_f32_e32 v40, v41, v26
	v_fma_f32 v23, -v23, v40, v27
	v_div_fmas_f32 v23, v23, v26, v40
	v_div_fixup_f32 v21, v23, s72, v21
	v_mul_f32_e32 v21, v21, v22
	v_fma_mixlo_f16 v40, v21, v29, v18 op_sel_hi:[0,1,1]
.LBB35_162:                             ;   in Loop: Header=BB35_83 Depth=2
	s_or_b64 exec, exec, s[44:45]
	s_cbranch_execnz .LBB35_164
.LBB35_163:                             ;   in Loop: Header=BB35_83 Depth=2
	v_bfe_i32 v20, v20, 0, 8
	v_cvt_f32_i32_sdwa v20, sext(v20) dst_sel:DWORD dst_unused:UNUSED_PAD src0_sel:WORD_0
	v_fma_mixlo_f16 v40, v20, v29, v18 op_sel_hi:[0,1,1]
.LBB35_164:                             ;   in Loop: Header=BB35_83 Depth=2
	s_and_b64 vcc, exec, s[4:5]
	v_lshrrev_b32_e32 v18, 24, v7
	s_cbranch_vccnz .LBB35_213
; %bb.165:                              ;   in Loop: Header=BB35_83 Depth=2
	v_cmp_ne_u16_e32 vcc, 0, v18
	v_cmp_neq_f16_e64 s[44:45], 0, v29
	s_and_b64 s[60:61], vcc, s[44:45]
	v_mov_b32_e32 v7, v5
	s_and_saveexec_b64 s[44:45], s[60:61]
	s_cbranch_execz .LBB35_167
; %bb.166:                              ;   in Loop: Header=BB35_83 Depth=2
	ds_read_u16 v7, v12 offset:30
	v_bfe_i32 v20, v18, 0, 8
	v_cvt_f32_i32_sdwa v20, sext(v20) dst_sel:DWORD dst_unused:UNUSED_PAD src0_sel:WORD_0
	s_waitcnt lgkmcnt(0)
	v_cvt_f32_f16_e32 v7, v7
	v_div_scale_f32 v21, s[60:61], s72, s72, v7
	v_rcp_f32_e32 v22, v21
	v_div_scale_f32 v23, vcc, v7, s72, v7
	v_fma_f32 v26, -v21, v22, 1.0
	v_fmac_f32_e32 v22, v26, v22
	v_mul_f32_e32 v26, v23, v22
	v_fma_f32 v27, -v21, v26, v23
	v_fmac_f32_e32 v26, v27, v22
	v_fma_f32 v21, -v21, v26, v23
	v_div_fmas_f32 v21, v21, v22, v26
	v_div_fixup_f32 v7, v21, s72, v7
	v_mul_f32_e32 v7, v7, v20
	v_fma_mixlo_f16 v7, v7, v29, v5 op_sel_hi:[0,1,1]
.LBB35_167:                             ;   in Loop: Header=BB35_83 Depth=2
	s_or_b64 exec, exec, s[44:45]
	s_cbranch_execnz .LBB35_80
	s_branch .LBB35_214
.LBB35_168:                             ;   in Loop: Header=BB35_83 Depth=2
	v_ashrrev_i32_e32 v7, 31, v28
	v_mov_b32_e32 v29, s49
	v_add_co_u32_e32 v6, vcc, s48, v28
	v_addc_co_u32_e32 v7, vcc, v29, v7, vcc
	global_load_ubyte v28, v[6:7], off
	v_mov_b32_e32 v29, 0
	v_mov_b32_e32 v30, 0
	s_and_saveexec_b64 s[58:59], s[14:15]
	s_cbranch_execz .LBB35_170
; %bb.169:                              ;   in Loop: Header=BB35_83 Depth=2
	global_load_ubyte v30, v[6:7], off offset:1
.LBB35_170:                             ;   in Loop: Header=BB35_83 Depth=2
	s_or_b64 exec, exec, s[58:59]
	s_and_saveexec_b64 s[58:59], s[16:17]
	s_cbranch_execz .LBB35_172
; %bb.171:                              ;   in Loop: Header=BB35_83 Depth=2
	global_load_ubyte v29, v[6:7], off offset:2
.LBB35_172:                             ;   in Loop: Header=BB35_83 Depth=2
	s_or_b64 exec, exec, s[58:59]
	v_mov_b32_e32 v32, 0
	v_mov_b32_e32 v31, 0
	s_and_saveexec_b64 s[58:59], s[18:19]
	s_cbranch_execz .LBB35_174
; %bb.173:                              ;   in Loop: Header=BB35_83 Depth=2
	global_load_ubyte v31, v[6:7], off offset:3
.LBB35_174:                             ;   in Loop: Header=BB35_83 Depth=2
	s_or_b64 exec, exec, s[58:59]
	s_and_saveexec_b64 s[58:59], s[20:21]
	s_cbranch_execz .LBB35_176
; %bb.175:                              ;   in Loop: Header=BB35_83 Depth=2
	global_load_ubyte v32, v[6:7], off offset:4
.LBB35_176:                             ;   in Loop: Header=BB35_83 Depth=2
	s_or_b64 exec, exec, s[58:59]
	v_mov_b32_e32 v33, 0
	v_mov_b32_e32 v35, 0
	s_and_saveexec_b64 s[58:59], s[22:23]
	s_cbranch_execnz .LBB35_205
; %bb.177:                              ;   in Loop: Header=BB35_83 Depth=2
	s_or_b64 exec, exec, s[58:59]
	s_and_saveexec_b64 s[58:59], s[24:25]
	s_cbranch_execnz .LBB35_206
.LBB35_178:                             ;   in Loop: Header=BB35_83 Depth=2
	s_or_b64 exec, exec, s[58:59]
	v_mov_b32_e32 v37, 0
	s_and_saveexec_b64 s[58:59], s[26:27]
	s_cbranch_execz .LBB35_180
.LBB35_179:                             ;   in Loop: Header=BB35_83 Depth=2
	global_load_ubyte v37, v[6:7], off offset:7
.LBB35_180:                             ;   in Loop: Header=BB35_83 Depth=2
	s_or_b64 exec, exec, s[58:59]
	s_waitcnt vmcnt(0)
	v_lshlrev_b16_e32 v6, 8, v35
	v_lshlrev_b16_e32 v7, 8, v37
	v_or_b32_sdwa v6, v32, v6 dst_sel:DWORD dst_unused:UNUSED_PAD src0_sel:BYTE_0 src1_sel:DWORD
	v_or_b32_sdwa v7, v33, v7 dst_sel:WORD_1 dst_unused:UNUSED_PAD src0_sel:BYTE_0 src1_sel:DWORD
	v_or_b32_sdwa v7, v6, v7 dst_sel:DWORD dst_unused:UNUSED_PAD src0_sel:WORD_0 src1_sel:DWORD
	v_lshlrev_b16_e32 v6, 8, v30
	v_or_b32_sdwa v6, v28, v6 dst_sel:DWORD dst_unused:UNUSED_PAD src0_sel:BYTE_0 src1_sel:DWORD
	v_lshlrev_b16_e32 v28, 8, v31
	v_or_b32_sdwa v28, v29, v28 dst_sel:WORD_1 dst_unused:UNUSED_PAD src0_sel:BYTE_0 src1_sel:DWORD
	v_or_b32_sdwa v6, v6, v28 dst_sel:DWORD dst_unused:UNUSED_PAD src0_sel:WORD_0 src1_sel:DWORD
                                        ; implicit-def: $vgpr28
	s_andn2_saveexec_b64 s[44:45], s[44:45]
	s_cbranch_execz .LBB35_86
.LBB35_181:                             ;   in Loop: Header=BB35_83 Depth=2
	v_ashrrev_i32_e32 v6, 31, v28
	v_lshrrev_b32_e32 v6, 29, v6
	v_add_u32_e32 v6, v28, v6
	v_ashrrev_i32_e32 v6, 3, v6
	v_ashrrev_i32_e32 v7, 31, v6
	v_lshlrev_b64 v[6:7], 3, v[6:7]
	v_mov_b32_e32 v28, s49
	v_add_co_u32_e32 v6, vcc, s48, v6
	v_addc_co_u32_e32 v7, vcc, v28, v7, vcc
	global_load_dwordx2 v[6:7], v[6:7], off
	s_or_b64 exec, exec, s[44:45]
	s_and_b64 vcc, exec, s[4:5]
	s_cbranch_vccz .LBB35_87
.LBB35_182:                             ;   in Loop: Header=BB35_83 Depth=2
                                        ; implicit-def: $vgpr28
                                        ; implicit-def: $vgpr29
	s_branch .LBB35_90
.LBB35_183:                             ;   in Loop: Header=BB35_83 Depth=2
                                        ; implicit-def: $vgpr30
	s_branch .LBB35_95
.LBB35_184:                             ;   in Loop: Header=BB35_83 Depth=2
                                        ; implicit-def: $vgpr31
	s_branch .LBB35_100
.LBB35_185:                             ;   in Loop: Header=BB35_83 Depth=2
                                        ; implicit-def: $vgpr32
	s_branch .LBB35_105
.LBB35_186:                             ;   in Loop: Header=BB35_83 Depth=2
                                        ; implicit-def: $vgpr33
	s_branch .LBB35_110
.LBB35_187:                             ;   in Loop: Header=BB35_83 Depth=2
                                        ; implicit-def: $vgpr35
	s_branch .LBB35_115
.LBB35_188:                             ;   in Loop: Header=BB35_83 Depth=2
                                        ; implicit-def: $vgpr37
	s_branch .LBB35_120
.LBB35_189:                             ;   in Loop: Header=BB35_83 Depth=2
                                        ; implicit-def: $vgpr39
	s_branch .LBB35_125
.LBB35_190:                             ;   in Loop: Header=BB35_83 Depth=2
	v_ashrrev_i32_e32 v6, 31, v41
	v_add_co_u32_e32 v7, vcc, v4, v41
	v_addc_co_u32_e32 v9, vcc, v1, v6, vcc
	v_mov_b32_e32 v6, s81
	v_add_co_u32_e32 v40, vcc, s80, v7
	v_addc_co_u32_e32 v41, vcc, v6, v9, vcc
	global_load_ubyte v6, v[40:41], off
	v_mov_b32_e32 v8, 0
	v_mov_b32_e32 v34, 0
	s_and_saveexec_b64 s[60:61], s[28:29]
	s_cbranch_execz .LBB35_192
; %bb.191:                              ;   in Loop: Header=BB35_83 Depth=2
	v_mov_b32_e32 v34, s83
	v_add_co_u32_e32 v40, vcc, s82, v7
	v_addc_co_u32_e32 v41, vcc, v34, v9, vcc
	global_load_ubyte v34, v[40:41], off
.LBB35_192:                             ;   in Loop: Header=BB35_83 Depth=2
	s_or_b64 exec, exec, s[60:61]
	s_and_saveexec_b64 s[60:61], s[30:31]
	s_cbranch_execz .LBB35_194
; %bb.193:                              ;   in Loop: Header=BB35_83 Depth=2
	v_mov_b32_e32 v8, s85
	v_add_co_u32_e32 v40, vcc, s84, v7
	v_addc_co_u32_e32 v41, vcc, v8, v9, vcc
	global_load_ubyte v8, v[40:41], off
.LBB35_194:                             ;   in Loop: Header=BB35_83 Depth=2
	s_or_b64 exec, exec, s[60:61]
	v_mov_b32_e32 v38, 0
	v_mov_b32_e32 v36, 0
	s_and_saveexec_b64 s[60:61], s[34:35]
	s_cbranch_execz .LBB35_196
; %bb.195:                              ;   in Loop: Header=BB35_83 Depth=2
	v_mov_b32_e32 v36, s87
	v_add_co_u32_e32 v40, vcc, s86, v7
	v_addc_co_u32_e32 v41, vcc, v36, v9, vcc
	global_load_ubyte v36, v[40:41], off
.LBB35_196:                             ;   in Loop: Header=BB35_83 Depth=2
	s_or_b64 exec, exec, s[60:61]
	s_and_saveexec_b64 s[60:61], s[36:37]
	s_cbranch_execz .LBB35_198
; %bb.197:                              ;   in Loop: Header=BB35_83 Depth=2
	v_mov_b32_e32 v38, s89
	v_add_co_u32_e32 v40, vcc, s88, v7
	v_addc_co_u32_e32 v41, vcc, v38, v9, vcc
	global_load_ubyte v38, v[40:41], off
.LBB35_198:                             ;   in Loop: Header=BB35_83 Depth=2
	s_or_b64 exec, exec, s[60:61]
	v_mov_b32_e32 v40, 0
	v_mov_b32_e32 v41, 0
	s_and_saveexec_b64 s[60:61], s[38:39]
	s_cbranch_execnz .LBB35_215
; %bb.199:                              ;   in Loop: Header=BB35_83 Depth=2
	s_or_b64 exec, exec, s[60:61]
	s_and_saveexec_b64 s[60:61], s[40:41]
	s_cbranch_execnz .LBB35_216
.LBB35_200:                             ;   in Loop: Header=BB35_83 Depth=2
	s_or_b64 exec, exec, s[60:61]
	v_mov_b32_e32 v42, 0
	s_and_saveexec_b64 s[60:61], s[42:43]
	s_cbranch_execz .LBB35_202
.LBB35_201:                             ;   in Loop: Header=BB35_83 Depth=2
	v_mov_b32_e32 v43, s95
	v_add_co_u32_e32 v42, vcc, s94, v7
	v_addc_co_u32_e32 v43, vcc, v43, v9, vcc
	global_load_ubyte v42, v[42:43], off
.LBB35_202:                             ;   in Loop: Header=BB35_83 Depth=2
	s_or_b64 exec, exec, s[60:61]
	s_waitcnt vmcnt(0)
	v_lshlrev_b16_e32 v7, 8, v41
	v_lshlrev_b16_e32 v9, 8, v42
	v_or_b32_sdwa v7, v38, v7 dst_sel:DWORD dst_unused:UNUSED_PAD src0_sel:BYTE_0 src1_sel:DWORD
	v_or_b32_sdwa v9, v40, v9 dst_sel:WORD_1 dst_unused:UNUSED_PAD src0_sel:BYTE_0 src1_sel:DWORD
	v_or_b32_sdwa v7, v7, v9 dst_sel:DWORD dst_unused:UNUSED_PAD src0_sel:WORD_0 src1_sel:DWORD
	v_lshlrev_b16_e32 v9, 8, v34
	v_or_b32_sdwa v6, v6, v9 dst_sel:DWORD dst_unused:UNUSED_PAD src0_sel:BYTE_0 src1_sel:DWORD
	v_lshlrev_b16_e32 v9, 8, v36
	v_or_b32_sdwa v8, v8, v9 dst_sel:WORD_1 dst_unused:UNUSED_PAD src0_sel:BYTE_0 src1_sel:DWORD
	v_or_b32_sdwa v6, v6, v8 dst_sel:DWORD dst_unused:UNUSED_PAD src0_sel:WORD_0 src1_sel:DWORD
                                        ; implicit-def: $vgpr41
	s_andn2_saveexec_b64 s[44:45], s[44:45]
	s_cbranch_execz .LBB35_129
.LBB35_203:                             ;   in Loop: Header=BB35_83 Depth=2
	v_add_u32_e32 v6, v17, v41
	v_ashrrev_i32_e32 v7, 31, v6
	v_lshrrev_b32_e32 v7, 29, v7
	v_add_u32_e32 v6, v6, v7
	v_ashrrev_i32_e32 v6, 3, v6
	v_ashrrev_i32_e32 v7, 31, v6
	v_lshlrev_b64 v[6:7], 3, v[6:7]
	v_mov_b32_e32 v8, s49
	v_add_co_u32_e32 v6, vcc, s48, v6
	v_addc_co_u32_e32 v7, vcc, v8, v7, vcc
	global_load_dwordx2 v[6:7], v[6:7], off
	s_or_b64 exec, exec, s[44:45]
	s_and_b64 vcc, exec, s[4:5]
	s_cbranch_vccz .LBB35_130
.LBB35_204:                             ;   in Loop: Header=BB35_83 Depth=2
                                        ; implicit-def: $vgpr34
	s_branch .LBB35_133
.LBB35_205:                             ;   in Loop: Header=BB35_83 Depth=2
	global_load_ubyte v35, v[6:7], off offset:5
	s_or_b64 exec, exec, s[58:59]
	s_and_saveexec_b64 s[58:59], s[24:25]
	s_cbranch_execz .LBB35_178
.LBB35_206:                             ;   in Loop: Header=BB35_83 Depth=2
	global_load_ubyte v33, v[6:7], off offset:6
	s_or_b64 exec, exec, s[58:59]
	v_mov_b32_e32 v37, 0
	s_and_saveexec_b64 s[58:59], s[26:27]
	s_cbranch_execnz .LBB35_179
	s_branch .LBB35_180
.LBB35_207:                             ;   in Loop: Header=BB35_83 Depth=2
                                        ; implicit-def: $vgpr36
	s_branch .LBB35_138
.LBB35_208:                             ;   in Loop: Header=BB35_83 Depth=2
                                        ; implicit-def: $vgpr38
	s_branch .LBB35_143
.LBB35_209:                             ;   in Loop: Header=BB35_83 Depth=2
                                        ; implicit-def: $vgpr9
	s_branch .LBB35_148
.LBB35_210:                             ;   in Loop: Header=BB35_83 Depth=2
                                        ; implicit-def: $vgpr6
	s_branch .LBB35_153
.LBB35_211:                             ;   in Loop: Header=BB35_83 Depth=2
                                        ; implicit-def: $vgpr8
	s_branch .LBB35_158
.LBB35_212:                             ;   in Loop: Header=BB35_83 Depth=2
                                        ; implicit-def: $vgpr40
	s_branch .LBB35_163
.LBB35_213:                             ;   in Loop: Header=BB35_83 Depth=2
                                        ; implicit-def: $vgpr7
.LBB35_214:                             ;   in Loop: Header=BB35_83 Depth=2
	v_bfe_i32 v7, v18, 0, 8
	v_cvt_f32_i32_sdwa v7, sext(v7) dst_sel:DWORD dst_unused:UNUSED_PAD src0_sel:WORD_0
	v_fma_mixlo_f16 v7, v7, v29, v5 op_sel_hi:[0,1,1]
	s_branch .LBB35_80
.LBB35_215:                             ;   in Loop: Header=BB35_83 Depth=2
	v_mov_b32_e32 v41, s91
	v_add_co_u32_e32 v42, vcc, s90, v7
	v_addc_co_u32_e32 v43, vcc, v41, v9, vcc
	global_load_ubyte v41, v[42:43], off
	s_or_b64 exec, exec, s[60:61]
	s_and_saveexec_b64 s[60:61], s[40:41]
	s_cbranch_execz .LBB35_200
.LBB35_216:                             ;   in Loop: Header=BB35_83 Depth=2
	v_mov_b32_e32 v40, s93
	v_add_co_u32_e32 v42, vcc, s92, v7
	v_addc_co_u32_e32 v43, vcc, v40, v9, vcc
	global_load_ubyte v40, v[42:43], off
	s_or_b64 exec, exec, s[60:61]
	v_mov_b32_e32 v42, 0
	s_and_saveexec_b64 s[60:61], s[42:43]
	s_cbranch_execnz .LBB35_201
	s_branch .LBB35_202
.LBB35_217:                             ;   in Loop: Header=BB35_69 Depth=1
	v_add_u32_e32 v6, s63, v4
	v_cmp_gt_i32_e32 vcc, s62, v17
	v_cmp_le_i32_e64 s[4:5], s62, v17
	s_and_saveexec_b64 s[6:7], s[4:5]
	s_xor_b64 s[6:7], exec, s[6:7]
	s_cbranch_execz .LBB35_235
; %bb.218:                              ;   in Loop: Header=BB35_69 Depth=1
	v_cmp_gt_i32_e64 s[4:5], s62, v4
	s_and_saveexec_b64 s[8:9], s[4:5]
	s_cbranch_execz .LBB35_220
; %bb.219:                              ;   in Loop: Header=BB35_69 Depth=1
	v_ashrrev_i32_e32 v7, 31, v6
	v_lshlrev_b64 v[24:25], 1, v[6:7]
	v_mov_b32_e32 v1, s51
	v_add_co_u32_e64 v24, s[4:5], s50, v24
	v_addc_co_u32_e64 v25, s[4:5], v1, v25, s[4:5]
	global_load_ushort v1, v[24:25], off
	s_waitcnt vmcnt(0)
	v_add_f16_e32 v1, v1, v43
	global_store_short v[24:25], v1, off
.LBB35_220:                             ;   in Loop: Header=BB35_69 Depth=1
	s_or_b64 exec, exec, s[8:9]
	v_or_b32_e32 v1, 1, v4
	v_cmp_gt_i32_e64 s[4:5], s62, v1
	s_and_saveexec_b64 s[8:9], s[4:5]
	s_cbranch_execz .LBB35_222
; %bb.221:                              ;   in Loop: Header=BB35_69 Depth=1
	v_ashrrev_i32_e32 v7, 31, v6
	v_readlane_b32 s4, v44, 1
	v_lshlrev_b64 v[24:25], 1, v[6:7]
	v_mov_b32_e32 v1, s4
	v_readlane_b32 s4, v44, 0
	v_add_co_u32_e64 v24, s[4:5], s4, v24
	v_addc_co_u32_e64 v25, s[4:5], v1, v25, s[4:5]
	global_load_ushort v1, v[24:25], off
	s_waitcnt vmcnt(0)
	v_add_f16_e32 v1, v1, v9
	global_store_short v[24:25], v1, off
.LBB35_222:                             ;   in Loop: Header=BB35_69 Depth=1
	s_or_b64 exec, exec, s[8:9]
	v_or_b32_e32 v1, 2, v4
	v_cmp_gt_i32_e64 s[4:5], s62, v1
	s_and_saveexec_b64 s[8:9], s[4:5]
	s_cbranch_execz .LBB35_224
; %bb.223:                              ;   in Loop: Header=BB35_69 Depth=1
	v_ashrrev_i32_e32 v7, 31, v6
	v_readlane_b32 s4, v44, 3
	v_lshlrev_b64 v[24:25], 1, v[6:7]
	v_mov_b32_e32 v1, s4
	v_readlane_b32 s4, v44, 2
	v_add_co_u32_e64 v24, s[4:5], s4, v24
	v_addc_co_u32_e64 v25, s[4:5], v1, v25, s[4:5]
	global_load_ushort v1, v[24:25], off
	s_waitcnt vmcnt(0)
	v_add_f16_e32 v1, v1, v8
	global_store_short v[24:25], v1, off
.LBB35_224:                             ;   in Loop: Header=BB35_69 Depth=1
	;; [unrolled: 18-line block ×7, first 2 shown]
	s_or_b64 exec, exec, s[8:9]
                                        ; implicit-def: $vgpr6
                                        ; implicit-def: $vgpr43
                                        ; implicit-def: $vgpr9
                                        ; implicit-def: $vgpr8
                                        ; implicit-def: $vgpr42
                                        ; implicit-def: $vgpr40
                                        ; implicit-def: $vgpr38
                                        ; implicit-def: $vgpr36
                                        ; implicit-def: $vgpr34
.LBB35_235:                             ;   in Loop: Header=BB35_69 Depth=1
	s_andn2_saveexec_b64 s[6:7], s[6:7]
	s_cbranch_execz .LBB35_237
; %bb.236:                              ;   in Loop: Header=BB35_69 Depth=1
	v_ashrrev_i32_e32 v1, 31, v6
	v_lshrrev_b32_e32 v1, 29, v1
	v_add_u32_e32 v1, v6, v1
	v_ashrrev_i32_e32 v6, 3, v1
	v_ashrrev_i32_e32 v7, 31, v6
	v_lshlrev_b64 v[6:7], 4, v[6:7]
	v_mov_b32_e32 v1, s51
	v_add_co_u32_e64 v24, s[4:5], s50, v6
	v_addc_co_u32_e64 v25, s[4:5], v1, v7, s[4:5]
	global_load_dwordx4 v[28:31], v[24:25], off
	s_waitcnt vmcnt(0)
	v_add_f16_e32 v1, v43, v28
	v_add_f16_sdwa v6, v9, v28 dst_sel:DWORD dst_unused:UNUSED_PAD src0_sel:DWORD src1_sel:WORD_1
	v_add_f16_e32 v7, v8, v29
	v_add_f16_sdwa v28, v42, v29 dst_sel:DWORD dst_unused:UNUSED_PAD src0_sel:DWORD src1_sel:WORD_1
	;; [unrolled: 2-line block ×4, first 2 shown]
	v_pack_b32_f16 v9, v9, v30
	v_pack_b32_f16 v8, v8, v29
	v_pack_b32_f16 v7, v7, v28
	v_pack_b32_f16 v6, v1, v6
	global_store_dwordx4 v[24:25], v[6:9], off
.LBB35_237:                             ;   in Loop: Header=BB35_69 Depth=1
	s_or_b64 exec, exec, s[6:7]
	v_cmp_le_i32_e64 s[4:5], s62, v19
	s_and_saveexec_b64 s[6:7], s[4:5]
	s_xor_b64 s[4:5], exec, s[6:7]
	s_cbranch_execz .LBB35_255
; %bb.238:                              ;   in Loop: Header=BB35_69 Depth=1
	s_and_saveexec_b64 s[6:7], vcc
	s_cbranch_execz .LBB35_240
; %bb.239:                              ;   in Loop: Header=BB35_69 Depth=1
	v_ashrrev_i32_e32 v1, 31, v4
	v_mov_b32_e32 v7, s96
	v_add_co_u32_e32 v6, vcc, s63, v4
	v_addc_co_u32_e32 v7, vcc, v1, v7, vcc
	v_lshlrev_b64 v[6:7], 1, v[6:7]
	v_readlane_b32 s8, v44, 14
	v_mov_b32_e32 v1, s98
	v_add_co_u32_e32 v6, vcc, s8, v6
	v_addc_co_u32_e32 v7, vcc, v1, v7, vcc
	global_load_ushort v1, v[6:7], off
	s_waitcnt vmcnt(0)
	v_add_f16_e32 v1, v1, v27
	global_store_short v[6:7], v1, off
.LBB35_240:                             ;   in Loop: Header=BB35_69 Depth=1
	s_or_b64 exec, exec, s[6:7]
	v_or_b32_e32 v1, 9, v4
	v_cmp_gt_i32_e32 vcc, s62, v1
	s_and_saveexec_b64 s[6:7], vcc
	s_cbranch_execz .LBB35_242
; %bb.241:                              ;   in Loop: Header=BB35_69 Depth=1
	v_ashrrev_i32_e32 v1, 31, v4
	v_mov_b32_e32 v7, s96
	v_add_co_u32_e32 v6, vcc, s63, v4
	v_addc_co_u32_e32 v7, vcc, v1, v7, vcc
	v_lshlrev_b64 v[6:7], 1, v[6:7]
	v_readlane_b32 s8, v44, 15
	v_mov_b32_e32 v1, s66
	v_add_co_u32_e32 v6, vcc, s8, v6
	v_addc_co_u32_e32 v7, vcc, v1, v7, vcc
	global_load_ushort v1, v[6:7], off
	s_waitcnt vmcnt(0)
	v_add_f16_e32 v1, v1, v26
	global_store_short v[6:7], v1, off
.LBB35_242:                             ;   in Loop: Header=BB35_69 Depth=1
	s_or_b64 exec, exec, s[6:7]
	v_or_b32_e32 v1, 10, v4
	v_cmp_gt_i32_e32 vcc, s62, v1
	;; [unrolled: 20-line block ×6, first 2 shown]
	s_and_saveexec_b64 s[6:7], vcc
	s_cbranch_execz .LBB35_252
; %bb.251:                              ;   in Loop: Header=BB35_69 Depth=1
	v_ashrrev_i32_e32 v1, 31, v4
	v_mov_b32_e32 v7, s96
	v_add_co_u32_e32 v6, vcc, s63, v4
	v_addc_co_u32_e32 v7, vcc, v1, v7, vcc
	v_lshlrev_b64 v[6:7], 1, v[6:7]
	v_mov_b32_e32 v1, s73
	v_add_co_u32_e32 v6, vcc, s71, v6
	v_addc_co_u32_e32 v7, vcc, v1, v7, vcc
	global_load_ushort v1, v[6:7], off
	s_waitcnt vmcnt(0)
	v_add_f16_e32 v1, v1, v18
	global_store_short v[6:7], v1, off
.LBB35_252:                             ;   in Loop: Header=BB35_69 Depth=1
	s_or_b64 exec, exec, s[6:7]
	v_or_b32_e32 v1, 15, v4
	v_cmp_gt_i32_e32 vcc, s62, v1
	s_and_saveexec_b64 s[6:7], vcc
	s_cbranch_execz .LBB35_254
; %bb.253:                              ;   in Loop: Header=BB35_69 Depth=1
	v_ashrrev_i32_e32 v1, 31, v4
	v_mov_b32_e32 v7, s96
	v_add_co_u32_e32 v6, vcc, s63, v4
	v_addc_co_u32_e32 v7, vcc, v1, v7, vcc
	v_lshlrev_b64 v[6:7], 1, v[6:7]
	v_mov_b32_e32 v1, s75
	v_add_co_u32_e32 v6, vcc, s97, v6
	v_addc_co_u32_e32 v7, vcc, v1, v7, vcc
	global_load_ushort v1, v[6:7], off
	s_waitcnt vmcnt(0)
	v_add_f16_e32 v1, v1, v5
	global_store_short v[6:7], v1, off
.LBB35_254:                             ;   in Loop: Header=BB35_69 Depth=1
	s_or_b64 exec, exec, s[6:7]
                                        ; implicit-def: $vgpr27
                                        ; implicit-def: $vgpr26
                                        ; implicit-def: $vgpr23
                                        ; implicit-def: $vgpr22
                                        ; implicit-def: $vgpr21
                                        ; implicit-def: $vgpr20
                                        ; implicit-def: $vgpr18
                                        ; implicit-def: $vgpr5
                                        ; implicit-def: $vgpr17
.LBB35_255:                             ;   in Loop: Header=BB35_69 Depth=1
	s_andn2_saveexec_b64 s[4:5], s[4:5]
	s_cbranch_execz .LBB35_68
; %bb.256:                              ;   in Loop: Header=BB35_69 Depth=1
	v_add_u32_e32 v1, s63, v17
	v_ashrrev_i32_e32 v4, 31, v1
	v_lshrrev_b32_e32 v4, 29, v4
	v_add_u32_e32 v1, v1, v4
	v_ashrrev_i32_e32 v6, 3, v1
	v_ashrrev_i32_e32 v7, 31, v6
	v_lshlrev_b64 v[6:7], 4, v[6:7]
	v_mov_b32_e32 v1, s51
	v_add_co_u32_e32 v8, vcc, s50, v6
	v_addc_co_u32_e32 v9, vcc, v1, v7, vcc
	global_load_ushort v1, v[8:9], off offset:14
	v_perm_b32 v7, v5, v18, s76
	v_perm_b32 v6, v20, v21, s76
	;; [unrolled: 1-line block ×3, first 2 shown]
	s_waitcnt vmcnt(0)
	v_add_f16_e32 v1, v27, v1
	v_perm_b32 v4, v26, v1, s76
	global_store_dwordx4 v[8:9], v[4:7], off
	s_branch .LBB35_68
.LBB35_257:
	s_endpgm
	.section	.rodata,"a",@progbits
	.p2align	6, 0x0
	.amdhsa_kernel _Z27kspmm_coo_very_sparse_naiveIaLi16ELi8EEvPiS0_S0_S0_S0_P6__halfPT_S2_Pfiiii
		.amdhsa_group_segment_fixed_size 4096
		.amdhsa_private_segment_fixed_size 208
		.amdhsa_kernarg_size 344
		.amdhsa_user_sgpr_count 8
		.amdhsa_user_sgpr_private_segment_buffer 1
		.amdhsa_user_sgpr_dispatch_ptr 0
		.amdhsa_user_sgpr_queue_ptr 0
		.amdhsa_user_sgpr_kernarg_segment_ptr 1
		.amdhsa_user_sgpr_dispatch_id 0
		.amdhsa_user_sgpr_flat_scratch_init 1
		.amdhsa_user_sgpr_kernarg_preload_length 0
		.amdhsa_user_sgpr_kernarg_preload_offset 0
		.amdhsa_user_sgpr_private_segment_size 0
		.amdhsa_uses_dynamic_stack 0
		.amdhsa_system_sgpr_private_segment_wavefront_offset 1
		.amdhsa_system_sgpr_workgroup_id_x 1
		.amdhsa_system_sgpr_workgroup_id_y 0
		.amdhsa_system_sgpr_workgroup_id_z 0
		.amdhsa_system_sgpr_workgroup_info 0
		.amdhsa_system_vgpr_workitem_id 0
		.amdhsa_next_free_vgpr 45
		.amdhsa_next_free_sgpr 100
		.amdhsa_accum_offset 48
		.amdhsa_reserve_vcc 1
		.amdhsa_reserve_flat_scratch 0
		.amdhsa_float_round_mode_32 0
		.amdhsa_float_round_mode_16_64 0
		.amdhsa_float_denorm_mode_32 3
		.amdhsa_float_denorm_mode_16_64 3
		.amdhsa_dx10_clamp 1
		.amdhsa_ieee_mode 1
		.amdhsa_fp16_overflow 0
		.amdhsa_tg_split 0
		.amdhsa_exception_fp_ieee_invalid_op 0
		.amdhsa_exception_fp_denorm_src 0
		.amdhsa_exception_fp_ieee_div_zero 0
		.amdhsa_exception_fp_ieee_overflow 0
		.amdhsa_exception_fp_ieee_underflow 0
		.amdhsa_exception_fp_ieee_inexact 0
		.amdhsa_exception_int_div_zero 0
	.end_amdhsa_kernel
	.section	.text._Z27kspmm_coo_very_sparse_naiveIaLi16ELi8EEvPiS0_S0_S0_S0_P6__halfPT_S2_Pfiiii,"axG",@progbits,_Z27kspmm_coo_very_sparse_naiveIaLi16ELi8EEvPiS0_S0_S0_S0_P6__halfPT_S2_Pfiiii,comdat
.Lfunc_end35:
	.size	_Z27kspmm_coo_very_sparse_naiveIaLi16ELi8EEvPiS0_S0_S0_S0_P6__halfPT_S2_Pfiiii, .Lfunc_end35-_Z27kspmm_coo_very_sparse_naiveIaLi16ELi8EEvPiS0_S0_S0_S0_P6__halfPT_S2_Pfiiii
                                        ; -- End function
	.section	.AMDGPU.csdata,"",@progbits
; Kernel info:
; codeLenInByte = 9784
; NumSgprs: 104
; NumVgprs: 45
; NumAgprs: 0
; TotalNumVgprs: 45
; ScratchSize: 208
; MemoryBound: 0
; FloatMode: 240
; IeeeMode: 1
; LDSByteSize: 4096 bytes/workgroup (compile time only)
; SGPRBlocks: 12
; VGPRBlocks: 5
; NumSGPRsForWavesPerEU: 104
; NumVGPRsForWavesPerEU: 45
; AccumOffset: 48
; Occupancy: 7
; WaveLimiterHint : 1
; COMPUTE_PGM_RSRC2:SCRATCH_EN: 1
; COMPUTE_PGM_RSRC2:USER_SGPR: 8
; COMPUTE_PGM_RSRC2:TRAP_HANDLER: 0
; COMPUTE_PGM_RSRC2:TGID_X_EN: 1
; COMPUTE_PGM_RSRC2:TGID_Y_EN: 0
; COMPUTE_PGM_RSRC2:TGID_Z_EN: 0
; COMPUTE_PGM_RSRC2:TIDIG_COMP_CNT: 0
; COMPUTE_PGM_RSRC3_GFX90A:ACCUM_OFFSET: 11
; COMPUTE_PGM_RSRC3_GFX90A:TG_SPLIT: 0
	.section	.text._Z27kspmm_coo_very_sparse_naiveIaLi32ELi8EEvPiS0_S0_S0_S0_P6__halfPT_S2_Pfiiii,"axG",@progbits,_Z27kspmm_coo_very_sparse_naiveIaLi32ELi8EEvPiS0_S0_S0_S0_P6__halfPT_S2_Pfiiii,comdat
